;; amdgpu-corpus repo=zjin-lcf/HeCBench kind=compiled arch=gfx906 opt=O3
	.amdgcn_target "amdgcn-amd-amdhsa--gfx906"
	.amdhsa_code_object_version 6
	.text
	.protected	_Z6init_cPfff           ; -- Begin function _Z6init_cPfff
	.globl	_Z6init_cPfff
	.p2align	8
	.type	_Z6init_cPfff,@function
_Z6init_cPfff:                          ; @_Z6init_cPfff
; %bb.0:
	s_load_dwordx4 s[0:3], s[4:5], 0x0
	v_cvt_f32_i32_e32 v0, s6
	s_ashr_i32 s7, s6, 31
	s_lshl_b64 s[4:5], s[6:7], 2
	s_waitcnt lgkmcnt(0)
	v_mov_b32_e32 v1, s3
	s_add_u32 s0, s0, s4
	v_fma_f32 v0, s2, v0, v1
	s_addc_u32 s1, s1, s5
	v_mov_b32_e32 v1, 0
	global_store_dword v1, v0, s[0:1]
	s_endpgm
	.section	.rodata,"a",@progbits
	.p2align	6, 0x0
	.amdhsa_kernel _Z6init_cPfff
		.amdhsa_group_segment_fixed_size 0
		.amdhsa_private_segment_fixed_size 0
		.amdhsa_kernarg_size 16
		.amdhsa_user_sgpr_count 6
		.amdhsa_user_sgpr_private_segment_buffer 1
		.amdhsa_user_sgpr_dispatch_ptr 0
		.amdhsa_user_sgpr_queue_ptr 0
		.amdhsa_user_sgpr_kernarg_segment_ptr 1
		.amdhsa_user_sgpr_dispatch_id 0
		.amdhsa_user_sgpr_flat_scratch_init 0
		.amdhsa_user_sgpr_private_segment_size 0
		.amdhsa_uses_dynamic_stack 0
		.amdhsa_system_sgpr_private_segment_wavefront_offset 0
		.amdhsa_system_sgpr_workgroup_id_x 1
		.amdhsa_system_sgpr_workgroup_id_y 0
		.amdhsa_system_sgpr_workgroup_id_z 0
		.amdhsa_system_sgpr_workgroup_info 0
		.amdhsa_system_vgpr_workitem_id 0
		.amdhsa_next_free_vgpr 2
		.amdhsa_next_free_sgpr 8
		.amdhsa_reserve_vcc 0
		.amdhsa_reserve_flat_scratch 0
		.amdhsa_float_round_mode_32 0
		.amdhsa_float_round_mode_16_64 0
		.amdhsa_float_denorm_mode_32 3
		.amdhsa_float_denorm_mode_16_64 3
		.amdhsa_dx10_clamp 1
		.amdhsa_ieee_mode 1
		.amdhsa_fp16_overflow 0
		.amdhsa_exception_fp_ieee_invalid_op 0
		.amdhsa_exception_fp_denorm_src 0
		.amdhsa_exception_fp_ieee_div_zero 0
		.amdhsa_exception_fp_ieee_overflow 0
		.amdhsa_exception_fp_ieee_underflow 0
		.amdhsa_exception_fp_ieee_inexact 0
		.amdhsa_exception_int_div_zero 0
	.end_amdhsa_kernel
	.text
.Lfunc_end0:
	.size	_Z6init_cPfff, .Lfunc_end0-_Z6init_cPfff
                                        ; -- End function
	.set _Z6init_cPfff.num_vgpr, 2
	.set _Z6init_cPfff.num_agpr, 0
	.set _Z6init_cPfff.numbered_sgpr, 8
	.set _Z6init_cPfff.num_named_barrier, 0
	.set _Z6init_cPfff.private_seg_size, 0
	.set _Z6init_cPfff.uses_vcc, 0
	.set _Z6init_cPfff.uses_flat_scratch, 0
	.set _Z6init_cPfff.has_dyn_sized_stack, 0
	.set _Z6init_cPfff.has_recursion, 0
	.set _Z6init_cPfff.has_indirect_call, 0
	.section	.AMDGPU.csdata,"",@progbits
; Kernel info:
; codeLenInByte = 60
; TotalNumSgprs: 12
; NumVgprs: 2
; ScratchSize: 0
; MemoryBound: 0
; FloatMode: 240
; IeeeMode: 1
; LDSByteSize: 0 bytes/workgroup (compile time only)
; SGPRBlocks: 1
; VGPRBlocks: 0
; NumSGPRsForWavesPerEU: 12
; NumVGPRsForWavesPerEU: 2
; Occupancy: 10
; WaveLimiterHint : 0
; COMPUTE_PGM_RSRC2:SCRATCH_EN: 0
; COMPUTE_PGM_RSRC2:USER_SGPR: 6
; COMPUTE_PGM_RSRC2:TRAP_HANDLER: 0
; COMPUTE_PGM_RSRC2:TGID_X_EN: 1
; COMPUTE_PGM_RSRC2:TGID_Y_EN: 0
; COMPUTE_PGM_RSRC2:TGID_Z_EN: 0
; COMPUTE_PGM_RSRC2:TIDIG_COMP_CNT: 0
	.text
	.protected	_Z9init_halfPKfS0_S0_S0_S0_Pf ; -- Begin function _Z9init_halfPKfS0_S0_S0_S0_Pf
	.globl	_Z9init_halfPKfS0_S0_S0_S0_Pf
	.p2align	8
	.type	_Z9init_halfPKfS0_S0_S0_S0_Pf,@function
_Z9init_halfPKfS0_S0_S0_S0_Pf:          ; @_Z9init_halfPKfS0_S0_S0_S0_Pf
; %bb.0:
	s_load_dwordx8 s[8:15], s[4:5], 0x0
	s_ashr_i32 s7, s6, 31
	s_lshl_b64 s[6:7], s[6:7], 2
	s_waitcnt lgkmcnt(0)
	s_add_u32 s0, s8, s6
	s_addc_u32 s1, s9, s7
	s_load_dword s8, s[0:1], 0x0
	s_mov_b32 s0, 0x68497682
	s_mov_b32 s1, 0x3d3c25c2
	s_waitcnt lgkmcnt(0)
	v_cvt_f64_f32_e64 v[0:1], |s8|
	v_cmp_gt_f64_e32 vcc, s[0:1], v[0:1]
	s_load_dwordx4 s[0:3], s[4:5], 0x20
	v_mov_b32_e32 v0, 1.0
	s_cbranch_vccnz .LBB1_3
; %bb.1:
	v_cmp_nlt_f32_e64 s[4:5], s8, 0
	s_and_b64 vcc, exec, s[4:5]
	v_mov_b32_e32 v0, s8
	s_cbranch_vccnz .LBB1_3
; %bb.2:
	v_div_scale_f32 v0, s[4:5], s8, s8, 1.0
	v_div_scale_f32 v1, vcc, 1.0, s8, 1.0
	v_rcp_f32_e32 v2, v0
	v_fma_f32 v3, -v0, v2, 1.0
	v_fmac_f32_e32 v2, v3, v2
	v_mul_f32_e32 v3, v1, v2
	v_fma_f32 v4, -v0, v3, v1
	v_fmac_f32_e32 v3, v4, v2
	v_fma_f32 v0, -v0, v3, v1
	v_div_fmas_f32 v0, v0, v2, v3
	v_div_fixup_f32 v0, v0, s8, 1.0
.LBB1_3:
	s_add_u32 s4, s10, s6
	s_addc_u32 s5, s11, s7
	s_load_dword s8, s[4:5], 0x0
	s_add_u32 s4, s14, s6
	s_addc_u32 s5, s15, s7
	s_load_dword s9, s[4:5], 0x0
	s_add_u32 s4, s12, s6
	s_addc_u32 s5, s13, s7
	s_waitcnt lgkmcnt(0)
	s_add_u32 s0, s0, s6
	s_addc_u32 s1, s1, s7
	s_load_dword s10, s[0:1], 0x0
	s_load_dword s11, s[4:5], 0x0
	v_mov_b32_e32 v1, s9
	v_sub_f32_e32 v1, s8, v1
	v_mul_f32_e32 v1, v0, v1
	s_waitcnt lgkmcnt(0)
	v_mov_b32_e32 v2, s10
	v_sub_f32_e32 v2, s11, v2
	v_mul_f32_e32 v0, v0, v2
	v_mul_f32_e32 v0, v0, v0
	v_fmac_f32_e32 v0, v1, v1
	v_mul_f32_e32 v0, 0x3e800000, v0
	s_mov_b32 s4, 0x49742400
	v_div_scale_f32 v1, s[0:1], s4, s4, v0
	v_div_scale_f32 v2, vcc, v0, s4, v0
	s_add_u32 s0, s2, s6
	s_addc_u32 s1, s3, s7
	v_rcp_f32_e32 v3, v1
	v_fma_f32 v4, -v1, v3, 1.0
	v_fmac_f32_e32 v3, v4, v3
	v_mul_f32_e32 v4, v2, v3
	v_fma_f32 v5, -v1, v4, v2
	v_fmac_f32_e32 v4, v5, v3
	v_fma_f32 v1, -v1, v4, v2
	v_div_fmas_f32 v1, v1, v3, v4
	v_div_fixup_f32 v0, v1, s4, v0
	v_mov_b32_e32 v1, 0
	global_store_dword v1, v0, s[0:1]
	s_endpgm
	.section	.rodata,"a",@progbits
	.p2align	6, 0x0
	.amdhsa_kernel _Z9init_halfPKfS0_S0_S0_S0_Pf
		.amdhsa_group_segment_fixed_size 0
		.amdhsa_private_segment_fixed_size 0
		.amdhsa_kernarg_size 48
		.amdhsa_user_sgpr_count 6
		.amdhsa_user_sgpr_private_segment_buffer 1
		.amdhsa_user_sgpr_dispatch_ptr 0
		.amdhsa_user_sgpr_queue_ptr 0
		.amdhsa_user_sgpr_kernarg_segment_ptr 1
		.amdhsa_user_sgpr_dispatch_id 0
		.amdhsa_user_sgpr_flat_scratch_init 0
		.amdhsa_user_sgpr_private_segment_size 0
		.amdhsa_uses_dynamic_stack 0
		.amdhsa_system_sgpr_private_segment_wavefront_offset 0
		.amdhsa_system_sgpr_workgroup_id_x 1
		.amdhsa_system_sgpr_workgroup_id_y 0
		.amdhsa_system_sgpr_workgroup_id_z 0
		.amdhsa_system_sgpr_workgroup_info 0
		.amdhsa_system_vgpr_workitem_id 0
		.amdhsa_next_free_vgpr 6
		.amdhsa_next_free_sgpr 16
		.amdhsa_reserve_vcc 1
		.amdhsa_reserve_flat_scratch 0
		.amdhsa_float_round_mode_32 0
		.amdhsa_float_round_mode_16_64 0
		.amdhsa_float_denorm_mode_32 3
		.amdhsa_float_denorm_mode_16_64 3
		.amdhsa_dx10_clamp 1
		.amdhsa_ieee_mode 1
		.amdhsa_fp16_overflow 0
		.amdhsa_exception_fp_ieee_invalid_op 0
		.amdhsa_exception_fp_denorm_src 0
		.amdhsa_exception_fp_ieee_div_zero 0
		.amdhsa_exception_fp_ieee_overflow 0
		.amdhsa_exception_fp_ieee_underflow 0
		.amdhsa_exception_fp_ieee_inexact 0
		.amdhsa_exception_int_div_zero 0
	.end_amdhsa_kernel
	.text
.Lfunc_end1:
	.size	_Z9init_halfPKfS0_S0_S0_S0_Pf, .Lfunc_end1-_Z9init_halfPKfS0_S0_S0_S0_Pf
                                        ; -- End function
	.set _Z9init_halfPKfS0_S0_S0_S0_Pf.num_vgpr, 6
	.set _Z9init_halfPKfS0_S0_S0_S0_Pf.num_agpr, 0
	.set _Z9init_halfPKfS0_S0_S0_S0_Pf.numbered_sgpr, 16
	.set _Z9init_halfPKfS0_S0_S0_S0_Pf.num_named_barrier, 0
	.set _Z9init_halfPKfS0_S0_S0_S0_Pf.private_seg_size, 0
	.set _Z9init_halfPKfS0_S0_S0_S0_Pf.uses_vcc, 1
	.set _Z9init_halfPKfS0_S0_S0_S0_Pf.uses_flat_scratch, 0
	.set _Z9init_halfPKfS0_S0_S0_S0_Pf.has_dyn_sized_stack, 0
	.set _Z9init_halfPKfS0_S0_S0_S0_Pf.has_recursion, 0
	.set _Z9init_halfPKfS0_S0_S0_S0_Pf.has_indirect_call, 0
	.section	.AMDGPU.csdata,"",@progbits
; Kernel info:
; codeLenInByte = 392
; TotalNumSgprs: 20
; NumVgprs: 6
; ScratchSize: 0
; MemoryBound: 0
; FloatMode: 240
; IeeeMode: 1
; LDSByteSize: 0 bytes/workgroup (compile time only)
; SGPRBlocks: 2
; VGPRBlocks: 1
; NumSGPRsForWavesPerEU: 20
; NumVGPRsForWavesPerEU: 6
; Occupancy: 10
; WaveLimiterHint : 0
; COMPUTE_PGM_RSRC2:SCRATCH_EN: 0
; COMPUTE_PGM_RSRC2:USER_SGPR: 6
; COMPUTE_PGM_RSRC2:TRAP_HANDLER: 0
; COMPUTE_PGM_RSRC2:TGID_X_EN: 1
; COMPUTE_PGM_RSRC2:TGID_Y_EN: 0
; COMPUTE_PGM_RSRC2:TGID_Z_EN: 0
; COMPUTE_PGM_RSRC2:TIDIG_COMP_CNT: 0
	.text
	.protected	_Z18compute_semblancesPKfS0_S0_PfS1_iiffiiii ; -- Begin function _Z18compute_semblancesPKfS0_S0_PfS1_iiffiiii
	.globl	_Z18compute_semblancesPKfS0_S0_PfS1_iiffiiii
	.p2align	8
	.type	_Z18compute_semblancesPKfS0_S0_PfS1_iiffiiii,@function
_Z18compute_semblancesPKfS0_S0_PfS1_iiffiiii: ; @_Z18compute_semblancesPKfS0_S0_PfS1_iiffiiii
; %bb.0:
	s_load_dwordx8 s[16:23], s[4:5], 0x28
	v_lshl_add_u32 v16, s6, 7, v0
	s_waitcnt lgkmcnt(0)
	s_mul_i32 s0, s23, s22
	v_cmp_gt_i32_e32 vcc, s0, v16
	s_and_saveexec_b64 s[0:1], vcc
	s_cbranch_execz .LBB2_24
; %bb.1:
	s_abs_i32 s0, s22
	v_cvt_f32_u32_e32 v0, s0
	s_sub_i32 s1, 0, s0
	v_sub_u32_e32 v2, 0, v16
	v_max_i32_e32 v2, v16, v2
	v_rcp_iflag_f32_e32 v0, v0
	v_xor_b32_e32 v3, s22, v16
	v_ashrrev_i32_e32 v3, 31, v3
	s_load_dwordx8 s[24:31], s[4:5], 0x0
	v_mul_f32_e32 v0, 0x4f7ffffe, v0
	v_cvt_u32_f32_e32 v0, v0
	s_cmp_gt_i32 s21, 0
	s_cselect_b64 s[34:35], -1, 0
	s_cmp_lt_i32 s21, 1
	v_mul_lo_u32 v1, s1, v0
	v_mul_hi_u32 v1, v0, v1
	v_add_u32_e32 v0, v0, v1
	v_mul_hi_u32 v0, v2, v0
	v_mul_lo_u32 v1, v0, s0
	v_add_u32_e32 v4, 1, v0
	v_sub_u32_e32 v1, v2, v1
	v_cmp_le_u32_e32 vcc, s0, v1
	v_subrev_u32_e32 v2, s0, v1
	v_cndmask_b32_e32 v0, v0, v4, vcc
	v_cndmask_b32_e32 v1, v1, v2, vcc
	v_add_u32_e32 v2, 1, v0
	v_cmp_le_u32_e32 vcc, s0, v1
	v_cndmask_b32_e32 v0, v0, v2, vcc
	v_xor_b32_e32 v0, v0, v3
	v_sub_u32_e32 v17, v0, v3
	v_mul_lo_u32 v0, v17, s22
	s_waitcnt lgkmcnt(0)
	v_mov_b32_e32 v2, s27
	s_mov_b32 s0, 0
	s_mov_b32 s1, s0
	v_sub_u32_e32 v0, v16, v0
	v_ashrrev_i32_e32 v1, 31, v0
	v_lshlrev_b64 v[0:1], 2, v[0:1]
	s_mov_b32 s2, s0
	v_add_co_u32_e32 v0, vcc, s26, v0
	v_addc_co_u32_e32 v1, vcc, v2, v1, vcc
	global_load_dword v20, v[0:1], off
	s_load_dwordx2 s[26:27], s[4:5], 0x20
	s_mov_b32 s3, s0
	s_mov_b32 s4, s0
	;; [unrolled: 1-line block ×13, first 2 shown]
	v_mov_b32_e32 v0, s0
	v_mov_b32_e32 v1, s1
	;; [unrolled: 1-line block ×16, first 2 shown]
	s_cbranch_scc1 .LBB2_4
; %bb.2:
	s_mov_b64 s[0:1], 0
	v_mov_b32_e32 v15, 0
	v_mov_b32_e32 v14, 0
	;; [unrolled: 1-line block ×16, first 2 shown]
.LBB2_3:                                ; =>This Inner Loop Header: Depth=1
	s_set_gpr_idx_on s0, gpr_idx(DST)
	v_mov_b32_e32 v0, 0
	s_set_gpr_idx_off
	s_add_u32 s0, s0, 1
	s_addc_u32 s1, s1, 0
	s_cmp_eq_u32 s21, s0
	s_cbranch_scc0 .LBB2_3
.LBB2_4:
	s_cmp_ge_i32 s16, s17
	s_cbranch_scc1 .LBB2_14
; %bb.5:
	v_cvt_f32_i32_e32 v17, v17
	s_add_i32 s8, s20, 1
	s_add_u32 s9, s28, 4
	s_addc_u32 s10, s29, 0
	v_mul_f32_e32 v17, s19, v17
	v_mul_f32_e32 v23, v17, v17
	s_sub_i32 s11, 0, s20
	v_mov_b32_e32 v24, 0
	v_mov_b32_e32 v22, 0
	s_mov_b32 s12, 0xf800000
	v_mov_b32_e32 v25, 0x260
	v_mov_b32_e32 v19, 0
	;; [unrolled: 1-line block ×3, first 2 shown]
	s_mov_b32 s6, s16
	s_branch .LBB2_8
.LBB2_6:                                ;   in Loop: Header=BB2_8 Depth=1
	v_add_f32_e32 v21, 1.0, v21
.LBB2_7:                                ;   in Loop: Header=BB2_8 Depth=1
	s_or_b64 exec, exec, s[0:1]
	s_add_i32 s6, s6, 1
	s_add_i32 s11, s11, s23
	s_cmp_ge_i32 s6, s17
	s_cbranch_scc1 .LBB2_16
.LBB2_8:                                ; =>This Loop Header: Depth=1
                                        ;     Child Loop BB2_13 Depth 2
	s_ashr_i32 s7, s6, 31
	s_lshl_b64 s[0:1], s[6:7], 2
	s_add_u32 s0, s24, s0
	s_addc_u32 s1, s25, s1
	s_load_dword s0, s[0:1], 0x0
	s_waitcnt vmcnt(0) lgkmcnt(0)
	v_fma_f32 v17, s0, v20, v23
	v_mul_f32_e32 v18, 0x4f800000, v17
	v_cmp_gt_f32_e32 vcc, s12, v17
	v_cndmask_b32_e32 v17, v17, v18, vcc
	v_sqrt_f32_e32 v18, v17
	v_cmp_class_f32_e64 s[0:1], v17, v25
	v_add_u32_e32 v26, -1, v18
	v_add_u32_e32 v27, 1, v18
	v_fma_f32 v28, -v26, v18, v17
	v_fma_f32 v29, -v27, v18, v17
	v_cmp_ge_f32_e64 s[2:3], 0, v28
	v_cmp_lt_f32_e64 s[4:5], 0, v29
	v_cndmask_b32_e64 v18, v18, v26, s[2:3]
	v_cndmask_b32_e64 v18, v18, v27, s[4:5]
	v_mul_f32_e32 v26, 0x37800000, v18
	v_cndmask_b32_e32 v18, v18, v26, vcc
	v_cndmask_b32_e64 v17, v18, v17, s[0:1]
	v_mul_f32_e32 v18, s18, v17
	v_cvt_i32_f32_e32 v17, v18
	v_subrev_u32_e32 v26, s20, v17
	v_add_u32_e32 v27, s8, v17
	v_cmp_gt_i32_e32 vcc, 0, v26
	v_cmp_le_i32_e64 s[0:1], s23, v27
	s_or_b64 s[0:1], vcc, s[0:1]
	s_and_saveexec_b64 s[2:3], s[0:1]
	s_xor_b64 s[0:1], exec, s[2:3]
; %bb.9:                                ;   in Loop: Header=BB2_8 Depth=1
	v_add_u32_e32 v24, 1, v24
                                        ; implicit-def: $vgpr17
                                        ; implicit-def: $vgpr18
                                        ; implicit-def: $vgpr26
; %bb.10:                               ;   in Loop: Header=BB2_8 Depth=1
	s_andn2_saveexec_b64 s[0:1], s[0:1]
	s_cbranch_execz .LBB2_7
; %bb.11:                               ;   in Loop: Header=BB2_8 Depth=1
	s_andn2_b64 vcc, exec, s[34:35]
	s_cbranch_vccnz .LBB2_6
; %bb.12:                               ;   in Loop: Header=BB2_8 Depth=1
	s_sub_i32 s2, s6, s16
	s_mul_i32 s2, s2, s23
	v_add_u32_e32 v26, s2, v26
	v_ashrrev_i32_e32 v27, 31, v26
	v_lshlrev_b64 v[26:27], 2, v[26:27]
	v_mov_b32_e32 v28, s29
	v_add_co_u32_e32 v26, vcc, s28, v26
	v_addc_co_u32_e32 v27, vcc, v28, v27, vcc
	global_load_dword v27, v[26:27], off
	v_cvt_f32_i32_e32 v26, v17
	v_add_u32_e32 v17, s11, v17
	v_mov_b32_e32 v28, s10
	s_mov_b64 s[2:3], 0
	v_sub_f32_e32 v26, v18, v26
	v_ashrrev_i32_e32 v18, 31, v17
	v_lshlrev_b64 v[17:18], 2, v[17:18]
	v_add_co_u32_e32 v17, vcc, s9, v17
	v_addc_co_u32_e32 v18, vcc, v28, v18, vcc
.LBB2_13:                               ;   Parent Loop BB2_8 Depth=1
                                        ; =>  This Inner Loop Header: Depth=2
	global_load_dword v28, v[17:18], off
	s_set_gpr_idx_on s2, gpr_idx(SRC0)
	v_mov_b32_e32 v29, v0
	s_set_gpr_idx_off
	v_add_co_u32_e32 v17, vcc, 4, v17
	v_addc_co_u32_e32 v18, vcc, 0, v18, vcc
	s_waitcnt vmcnt(0)
	v_sub_f32_e32 v30, v28, v27
	v_fmac_f32_e32 v27, v26, v30
	v_add_f32_e32 v29, v29, v27
	v_fmac_f32_e32 v22, v27, v27
	v_add_f32_e32 v19, v19, v27
	s_set_gpr_idx_on s2, gpr_idx(DST)
	v_mov_b32_e32 v0, v29
	s_set_gpr_idx_off
	s_add_u32 s2, s2, 1
	s_addc_u32 s3, s3, 0
	s_cmp_eq_u32 s21, s2
	v_mov_b32_e32 v27, v28
	s_cbranch_scc0 .LBB2_13
	s_branch .LBB2_6
.LBB2_14:
	s_mov_b64 s[2:3], -1
	v_mov_b32_e32 v22, 0
	v_mov_b32_e32 v19, 0
	;; [unrolled: 1-line block ×3, first 2 shown]
	s_andn2_b64 vcc, exec, s[34:35]
	s_cbranch_vccz .LBB2_17
.LBB2_15:
	s_mov_b64 s[2:3], 0
	v_mov_b32_e32 v18, 0
	s_branch .LBB2_19
.LBB2_16:
	v_cmp_gt_i32_e64 s[2:3], 2, v24
	s_andn2_b64 vcc, exec, s[34:35]
	s_cbranch_vccnz .LBB2_15
.LBB2_17:
	v_mov_b32_e32 v18, 0
	s_mov_b64 s[0:1], 0
.LBB2_18:                               ; =>This Inner Loop Header: Depth=1
	s_set_gpr_idx_on s0, gpr_idx(SRC0)
	v_mov_b32_e32 v17, v0
	s_set_gpr_idx_off
	s_add_u32 s0, s0, 1
	s_addc_u32 s1, s1, 0
	s_cmp_eq_u32 s21, s0
	v_fmac_f32_e32 v18, v17, v17
	s_cbranch_scc0 .LBB2_18
.LBB2_19:
	v_cvt_f64_f32_e32 v[0:1], v22
	v_cvt_f64_f32_e32 v[2:3], v21
	s_mov_b32 s0, 0x68497682
	s_mov_b32 s1, 0x3d3c25c2
	v_cmp_lt_f64_e32 vcc, s[0:1], v[0:1]
	v_cmp_lt_f64_e64 s[0:1], s[0:1], v[2:3]
	v_ashrrev_i32_e32 v17, 31, v16
	s_and_b64 s[0:1], vcc, s[0:1]
	s_and_b64 s[0:1], s[0:1], s[2:3]
	s_xor_b64 s[0:1], s[0:1], -1
	s_and_saveexec_b64 s[2:3], s[0:1]
	s_xor_b64 s[0:1], exec, s[2:3]
	s_cbranch_execz .LBB2_21
; %bb.20:
	v_lshlrev_b64 v[0:1], 2, v[16:17]
	v_mov_b32_e32 v2, s31
	v_add_co_u32_e32 v0, vcc, s30, v0
	v_addc_co_u32_e32 v1, vcc, v2, v1, vcc
	v_mov_b32_e32 v2, -1.0
	global_store_dword v[0:1], v2, off
                                        ; implicit-def: $vgpr21
                                        ; implicit-def: $vgpr22
                                        ; implicit-def: $vgpr18
                                        ; implicit-def: $vgpr19
.LBB2_21:
	s_or_saveexec_b64 s[2:3], s[0:1]
	v_mov_b32_e32 v0, -1.0
	s_xor_b64 exec, exec, s[2:3]
	s_cbranch_execz .LBB2_23
; %bb.22:
	v_mul_f32_e32 v2, v21, v22
	v_cvt_f32_u32_e32 v0, s21
	v_div_scale_f32 v1, s[0:1], v2, v2, v18
	v_div_scale_f32 v4, vcc, v18, v2, v18
	v_mul_f32_e32 v3, v21, v0
	v_div_scale_f32 v0, s[0:1], v3, v3, v19
	v_div_scale_f32 v5, s[0:1], v19, v3, v19
	v_rcp_f32_e32 v6, v1
	v_fma_f32 v7, -v1, v6, 1.0
	v_rcp_f32_e32 v8, v0
	v_fmac_f32_e32 v6, v7, v6
	v_mul_f32_e32 v7, v4, v6
	v_fma_f32 v9, -v1, v7, v4
	v_fmac_f32_e32 v7, v9, v6
	v_fma_f32 v9, -v0, v8, 1.0
	v_fma_f32 v1, -v1, v7, v4
	v_fmac_f32_e32 v8, v9, v8
	v_div_fmas_f32 v4, v1, v6, v7
	v_mul_f32_e32 v1, v5, v8
	v_fma_f32 v6, -v0, v1, v5
	v_fmac_f32_e32 v1, v6, v8
	v_fma_f32 v0, -v0, v1, v5
	s_mov_b64 vcc, s[0:1]
	v_div_fmas_f32 v5, v0, v8, v1
	v_lshlrev_b64 v[0:1], 2, v[16:17]
	v_mov_b32_e32 v6, s31
	v_add_co_u32_e32 v0, vcc, s30, v0
	v_addc_co_u32_e32 v1, vcc, v6, v1, vcc
	v_div_fixup_f32 v2, v4, v2, v18
	global_store_dword v[0:1], v2, off
	v_div_fixup_f32 v0, v5, v3, v19
.LBB2_23:
	s_or_b64 exec, exec, s[2:3]
	v_lshlrev_b64 v[1:2], 2, v[16:17]
	s_waitcnt lgkmcnt(0)
	v_mov_b32_e32 v3, s27
	v_add_co_u32_e32 v1, vcc, s26, v1
	v_addc_co_u32_e32 v2, vcc, v3, v2, vcc
	global_store_dword v[1:2], v0, off
.LBB2_24:
	s_endpgm
	.section	.rodata,"a",@progbits
	.p2align	6, 0x0
	.amdhsa_kernel _Z18compute_semblancesPKfS0_S0_PfS1_iiffiiii
		.amdhsa_group_segment_fixed_size 0
		.amdhsa_private_segment_fixed_size 0
		.amdhsa_kernarg_size 72
		.amdhsa_user_sgpr_count 6
		.amdhsa_user_sgpr_private_segment_buffer 1
		.amdhsa_user_sgpr_dispatch_ptr 0
		.amdhsa_user_sgpr_queue_ptr 0
		.amdhsa_user_sgpr_kernarg_segment_ptr 1
		.amdhsa_user_sgpr_dispatch_id 0
		.amdhsa_user_sgpr_flat_scratch_init 0
		.amdhsa_user_sgpr_private_segment_size 0
		.amdhsa_uses_dynamic_stack 0
		.amdhsa_system_sgpr_private_segment_wavefront_offset 0
		.amdhsa_system_sgpr_workgroup_id_x 1
		.amdhsa_system_sgpr_workgroup_id_y 0
		.amdhsa_system_sgpr_workgroup_id_z 0
		.amdhsa_system_sgpr_workgroup_info 0
		.amdhsa_system_vgpr_workitem_id 0
		.amdhsa_next_free_vgpr 31
		.amdhsa_next_free_sgpr 36
		.amdhsa_reserve_vcc 1
		.amdhsa_reserve_flat_scratch 0
		.amdhsa_float_round_mode_32 0
		.amdhsa_float_round_mode_16_64 0
		.amdhsa_float_denorm_mode_32 3
		.amdhsa_float_denorm_mode_16_64 3
		.amdhsa_dx10_clamp 1
		.amdhsa_ieee_mode 1
		.amdhsa_fp16_overflow 0
		.amdhsa_exception_fp_ieee_invalid_op 0
		.amdhsa_exception_fp_denorm_src 0
		.amdhsa_exception_fp_ieee_div_zero 0
		.amdhsa_exception_fp_ieee_overflow 0
		.amdhsa_exception_fp_ieee_underflow 0
		.amdhsa_exception_fp_ieee_inexact 0
		.amdhsa_exception_int_div_zero 0
	.end_amdhsa_kernel
	.text
.Lfunc_end2:
	.size	_Z18compute_semblancesPKfS0_S0_PfS1_iiffiiii, .Lfunc_end2-_Z18compute_semblancesPKfS0_S0_PfS1_iiffiiii
                                        ; -- End function
	.set _Z18compute_semblancesPKfS0_S0_PfS1_iiffiiii.num_vgpr, 31
	.set _Z18compute_semblancesPKfS0_S0_PfS1_iiffiiii.num_agpr, 0
	.set _Z18compute_semblancesPKfS0_S0_PfS1_iiffiiii.numbered_sgpr, 36
	.set _Z18compute_semblancesPKfS0_S0_PfS1_iiffiiii.num_named_barrier, 0
	.set _Z18compute_semblancesPKfS0_S0_PfS1_iiffiiii.private_seg_size, 0
	.set _Z18compute_semblancesPKfS0_S0_PfS1_iiffiiii.uses_vcc, 1
	.set _Z18compute_semblancesPKfS0_S0_PfS1_iiffiiii.uses_flat_scratch, 0
	.set _Z18compute_semblancesPKfS0_S0_PfS1_iiffiiii.has_dyn_sized_stack, 0
	.set _Z18compute_semblancesPKfS0_S0_PfS1_iiffiiii.has_recursion, 0
	.set _Z18compute_semblancesPKfS0_S0_PfS1_iiffiiii.has_indirect_call, 0
	.section	.AMDGPU.csdata,"",@progbits
; Kernel info:
; codeLenInByte = 1368
; TotalNumSgprs: 40
; NumVgprs: 31
; ScratchSize: 0
; MemoryBound: 0
; FloatMode: 240
; IeeeMode: 1
; LDSByteSize: 0 bytes/workgroup (compile time only)
; SGPRBlocks: 4
; VGPRBlocks: 7
; NumSGPRsForWavesPerEU: 40
; NumVGPRsForWavesPerEU: 31
; Occupancy: 8
; WaveLimiterHint : 0
; COMPUTE_PGM_RSRC2:SCRATCH_EN: 0
; COMPUTE_PGM_RSRC2:USER_SGPR: 6
; COMPUTE_PGM_RSRC2:TRAP_HANDLER: 0
; COMPUTE_PGM_RSRC2:TGID_X_EN: 1
; COMPUTE_PGM_RSRC2:TGID_Y_EN: 0
; COMPUTE_PGM_RSRC2:TGID_Z_EN: 0
; COMPUTE_PGM_RSRC2:TIDIG_COMP_CNT: 0
	.text
	.protected	_Z16redux_semblancesPKfS0_PiPfS2_iii ; -- Begin function _Z16redux_semblancesPKfS0_PiPfS2_iii
	.globl	_Z16redux_semblancesPKfS0_PiPfS2_iii
	.p2align	8
	.type	_Z16redux_semblancesPKfS0_PiPfS2_iii,@function
_Z16redux_semblancesPKfS0_PiPfS2_iii:   ; @_Z16redux_semblancesPKfS0_PiPfS2_iii
; %bb.0:
	s_load_dwordx4 s[16:19], s[4:5], 0x28
	v_lshl_add_u32 v4, s6, 7, v0
	s_waitcnt lgkmcnt(0)
	v_cmp_gt_i32_e32 vcc, s18, v4
	s_and_saveexec_b64 s[0:1], vcc
	s_cbranch_execz .LBB3_9
; %bb.1:
	s_load_dwordx8 s[8:15], s[4:5], 0x8
	s_cmp_lt_i32 s16, 1
	s_cbranch_scc1 .LBB3_5
; %bb.2:
	v_mul_lo_u32 v1, s16, v4
	s_load_dwordx2 s[0:1], s[4:5], 0x0
	v_mov_b32_e32 v5, 0
	s_mov_b64 s[2:3], 0
	v_ashrrev_i32_e32 v2, 31, v1
	v_lshlrev_b64 v[2:3], 2, v[1:2]
	s_waitcnt lgkmcnt(0)
	v_mov_b32_e32 v0, s1
	v_add_co_u32_e32 v2, vcc, s0, v2
	v_add_u32_e32 v6, s16, v1
	v_addc_co_u32_e32 v3, vcc, v0, v3, vcc
	v_mov_b32_e32 v0, -1
.LBB3_3:                                ; =>This Inner Loop Header: Depth=1
	global_load_dword v7, v[2:3], off
	v_add_co_u32_e32 v2, vcc, 4, v2
	v_addc_co_u32_e32 v3, vcc, 0, v3, vcc
	s_waitcnt vmcnt(0)
	v_cmp_gt_f32_e32 vcc, v7, v5
	v_cndmask_b32_e32 v0, v0, v1, vcc
	v_add_u32_e32 v1, 1, v1
	v_cmp_ge_i32_e64 s[0:1], v1, v6
	s_or_b64 s[2:3], s[0:1], s[2:3]
	v_cndmask_b32_e32 v5, v5, v7, vcc
	s_andn2_b64 exec, exec, s[2:3]
	s_cbranch_execnz .LBB3_3
; %bb.4:
	s_or_b64 exec, exec, s[2:3]
	s_branch .LBB3_6
.LBB3_5:
	v_mov_b32_e32 v0, -1
	v_mov_b32_e32 v5, 0
.LBB3_6:
	s_abs_i32 s0, s16
	v_cvt_f32_u32_e32 v1, s0
	s_sub_i32 s2, 0, s0
	s_mul_i32 s1, s18, s17
	s_waitcnt lgkmcnt(0)
	v_mov_b32_e32 v7, s11
	v_rcp_iflag_f32_e32 v1, v1
	v_mov_b32_e32 v9, s13
	v_ashrrev_i32_e32 v10, 31, v0
	v_mul_f32_e32 v1, 0x4f7ffffe, v1
	v_cvt_u32_f32_e32 v6, v1
	v_sub_u32_e32 v1, 0, v0
	v_max_i32_e32 v11, v0, v1
	v_add_u32_e32 v1, s1, v4
	v_mul_lo_u32 v2, s2, v6
	v_mul_hi_u32 v8, v6, v2
	v_ashrrev_i32_e32 v2, 31, v1
	v_lshlrev_b64 v[2:3], 2, v[1:2]
	v_add_u32_e32 v1, v6, v8
	v_mul_hi_u32 v1, v11, v1
	v_add_co_u32_e32 v6, vcc, s10, v2
	v_addc_co_u32_e32 v7, vcc, v7, v3, vcc
	v_mul_lo_u32 v1, v1, s0
	v_add_co_u32_e32 v8, vcc, s12, v2
	v_addc_co_u32_e32 v9, vcc, v9, v3, vcc
	v_sub_u32_e32 v1, v11, v1
	v_subrev_u32_e32 v4, s0, v1
	v_cmp_le_u32_e32 vcc, s0, v1
	v_cndmask_b32_e32 v1, v1, v4, vcc
	v_subrev_u32_e32 v4, s0, v1
	v_cmp_le_u32_e32 vcc, s0, v1
	v_cndmask_b32_e32 v1, v1, v4, vcc
	v_xor_b32_e32 v1, v1, v10
	v_sub_u32_e32 v1, v1, v10
	global_store_dword v[6:7], v1, off
	v_cmp_lt_i32_e32 vcc, -1, v0
	v_mov_b32_e32 v1, 0
	global_store_dword v[8:9], v5, off
	s_and_saveexec_b64 s[0:1], vcc
	s_cbranch_execz .LBB3_8
; %bb.7:
	v_mov_b32_e32 v1, 0
	v_lshlrev_b64 v[0:1], 2, v[0:1]
	v_mov_b32_e32 v4, s9
	v_add_co_u32_e32 v0, vcc, s8, v0
	v_addc_co_u32_e32 v1, vcc, v4, v1, vcc
	global_load_dword v1, v[0:1], off
.LBB3_8:
	s_or_b64 exec, exec, s[0:1]
	v_mov_b32_e32 v0, s15
	v_add_co_u32_e32 v2, vcc, s14, v2
	v_addc_co_u32_e32 v3, vcc, v0, v3, vcc
	s_waitcnt vmcnt(0)
	global_store_dword v[2:3], v1, off
.LBB3_9:
	s_endpgm
	.section	.rodata,"a",@progbits
	.p2align	6, 0x0
	.amdhsa_kernel _Z16redux_semblancesPKfS0_PiPfS2_iii
		.amdhsa_group_segment_fixed_size 0
		.amdhsa_private_segment_fixed_size 0
		.amdhsa_kernarg_size 52
		.amdhsa_user_sgpr_count 6
		.amdhsa_user_sgpr_private_segment_buffer 1
		.amdhsa_user_sgpr_dispatch_ptr 0
		.amdhsa_user_sgpr_queue_ptr 0
		.amdhsa_user_sgpr_kernarg_segment_ptr 1
		.amdhsa_user_sgpr_dispatch_id 0
		.amdhsa_user_sgpr_flat_scratch_init 0
		.amdhsa_user_sgpr_private_segment_size 0
		.amdhsa_uses_dynamic_stack 0
		.amdhsa_system_sgpr_private_segment_wavefront_offset 0
		.amdhsa_system_sgpr_workgroup_id_x 1
		.amdhsa_system_sgpr_workgroup_id_y 0
		.amdhsa_system_sgpr_workgroup_id_z 0
		.amdhsa_system_sgpr_workgroup_info 0
		.amdhsa_system_vgpr_workitem_id 0
		.amdhsa_next_free_vgpr 12
		.amdhsa_next_free_sgpr 20
		.amdhsa_reserve_vcc 1
		.amdhsa_reserve_flat_scratch 0
		.amdhsa_float_round_mode_32 0
		.amdhsa_float_round_mode_16_64 0
		.amdhsa_float_denorm_mode_32 3
		.amdhsa_float_denorm_mode_16_64 3
		.amdhsa_dx10_clamp 1
		.amdhsa_ieee_mode 1
		.amdhsa_fp16_overflow 0
		.amdhsa_exception_fp_ieee_invalid_op 0
		.amdhsa_exception_fp_denorm_src 0
		.amdhsa_exception_fp_ieee_div_zero 0
		.amdhsa_exception_fp_ieee_overflow 0
		.amdhsa_exception_fp_ieee_underflow 0
		.amdhsa_exception_fp_ieee_inexact 0
		.amdhsa_exception_int_div_zero 0
	.end_amdhsa_kernel
	.text
.Lfunc_end3:
	.size	_Z16redux_semblancesPKfS0_PiPfS2_iii, .Lfunc_end3-_Z16redux_semblancesPKfS0_PiPfS2_iii
                                        ; -- End function
	.set _Z16redux_semblancesPKfS0_PiPfS2_iii.num_vgpr, 12
	.set _Z16redux_semblancesPKfS0_PiPfS2_iii.num_agpr, 0
	.set _Z16redux_semblancesPKfS0_PiPfS2_iii.numbered_sgpr, 20
	.set _Z16redux_semblancesPKfS0_PiPfS2_iii.num_named_barrier, 0
	.set _Z16redux_semblancesPKfS0_PiPfS2_iii.private_seg_size, 0
	.set _Z16redux_semblancesPKfS0_PiPfS2_iii.uses_vcc, 1
	.set _Z16redux_semblancesPKfS0_PiPfS2_iii.uses_flat_scratch, 0
	.set _Z16redux_semblancesPKfS0_PiPfS2_iii.has_dyn_sized_stack, 0
	.set _Z16redux_semblancesPKfS0_PiPfS2_iii.has_recursion, 0
	.set _Z16redux_semblancesPKfS0_PiPfS2_iii.has_indirect_call, 0
	.section	.AMDGPU.csdata,"",@progbits
; Kernel info:
; codeLenInByte = 436
; TotalNumSgprs: 24
; NumVgprs: 12
; ScratchSize: 0
; MemoryBound: 0
; FloatMode: 240
; IeeeMode: 1
; LDSByteSize: 0 bytes/workgroup (compile time only)
; SGPRBlocks: 2
; VGPRBlocks: 2
; NumSGPRsForWavesPerEU: 24
; NumVGPRsForWavesPerEU: 12
; Occupancy: 10
; WaveLimiterHint : 0
; COMPUTE_PGM_RSRC2:SCRATCH_EN: 0
; COMPUTE_PGM_RSRC2:USER_SGPR: 6
; COMPUTE_PGM_RSRC2:TRAP_HANDLER: 0
; COMPUTE_PGM_RSRC2:TGID_X_EN: 1
; COMPUTE_PGM_RSRC2:TGID_Y_EN: 0
; COMPUTE_PGM_RSRC2:TGID_Z_EN: 0
; COMPUTE_PGM_RSRC2:TIDIG_COMP_CNT: 0
	.section	.AMDGPU.gpr_maximums,"",@progbits
	.set amdgpu.max_num_vgpr, 0
	.set amdgpu.max_num_agpr, 0
	.set amdgpu.max_num_sgpr, 0
	.section	.AMDGPU.csdata,"",@progbits
	.type	__hip_cuid_9ef074d0437b4c72,@object ; @__hip_cuid_9ef074d0437b4c72
	.section	.bss,"aw",@nobits
	.globl	__hip_cuid_9ef074d0437b4c72
__hip_cuid_9ef074d0437b4c72:
	.byte	0                               ; 0x0
	.size	__hip_cuid_9ef074d0437b4c72, 1

	.ident	"AMD clang version 22.0.0git (https://github.com/RadeonOpenCompute/llvm-project roc-7.2.4 26084 f58b06dce1f9c15707c5f808fd002e18c2accf7e)"
	.section	".note.GNU-stack","",@progbits
	.addrsig
	.addrsig_sym __hip_cuid_9ef074d0437b4c72
	.amdgpu_metadata
---
amdhsa.kernels:
  - .args:
      - .address_space:  global
        .offset:         0
        .size:           8
        .value_kind:     global_buffer
      - .offset:         8
        .size:           4
        .value_kind:     by_value
      - .offset:         12
        .size:           4
        .value_kind:     by_value
    .group_segment_fixed_size: 0
    .kernarg_segment_align: 8
    .kernarg_segment_size: 16
    .language:       OpenCL C
    .language_version:
      - 2
      - 0
    .max_flat_workgroup_size: 1024
    .name:           _Z6init_cPfff
    .private_segment_fixed_size: 0
    .sgpr_count:     12
    .sgpr_spill_count: 0
    .symbol:         _Z6init_cPfff.kd
    .uniform_work_group_size: 1
    .uses_dynamic_stack: false
    .vgpr_count:     2
    .vgpr_spill_count: 0
    .wavefront_size: 64
  - .args:
      - .actual_access:  read_only
        .address_space:  global
        .offset:         0
        .size:           8
        .value_kind:     global_buffer
      - .actual_access:  read_only
        .address_space:  global
        .offset:         8
        .size:           8
        .value_kind:     global_buffer
      - .actual_access:  read_only
        .address_space:  global
        .offset:         16
        .size:           8
        .value_kind:     global_buffer
      - .actual_access:  read_only
        .address_space:  global
        .offset:         24
        .size:           8
        .value_kind:     global_buffer
      - .actual_access:  read_only
        .address_space:  global
        .offset:         32
        .size:           8
        .value_kind:     global_buffer
      - .actual_access:  write_only
        .address_space:  global
        .offset:         40
        .size:           8
        .value_kind:     global_buffer
    .group_segment_fixed_size: 0
    .kernarg_segment_align: 8
    .kernarg_segment_size: 48
    .language:       OpenCL C
    .language_version:
      - 2
      - 0
    .max_flat_workgroup_size: 1024
    .name:           _Z9init_halfPKfS0_S0_S0_S0_Pf
    .private_segment_fixed_size: 0
    .sgpr_count:     20
    .sgpr_spill_count: 0
    .symbol:         _Z9init_halfPKfS0_S0_S0_S0_Pf.kd
    .uniform_work_group_size: 1
    .uses_dynamic_stack: false
    .vgpr_count:     6
    .vgpr_spill_count: 0
    .wavefront_size: 64
  - .args:
      - .actual_access:  read_only
        .address_space:  global
        .offset:         0
        .size:           8
        .value_kind:     global_buffer
      - .actual_access:  read_only
        .address_space:  global
        .offset:         8
        .size:           8
        .value_kind:     global_buffer
      - .actual_access:  read_only
        .address_space:  global
        .offset:         16
        .size:           8
        .value_kind:     global_buffer
      - .actual_access:  write_only
        .address_space:  global
        .offset:         24
        .size:           8
        .value_kind:     global_buffer
      - .actual_access:  write_only
        .address_space:  global
        .offset:         32
        .size:           8
        .value_kind:     global_buffer
      - .offset:         40
        .size:           4
        .value_kind:     by_value
      - .offset:         44
        .size:           4
        .value_kind:     by_value
      - .offset:         48
        .size:           4
        .value_kind:     by_value
      - .offset:         52
        .size:           4
        .value_kind:     by_value
      - .offset:         56
        .size:           4
        .value_kind:     by_value
      - .offset:         60
        .size:           4
        .value_kind:     by_value
      - .offset:         64
        .size:           4
        .value_kind:     by_value
      - .offset:         68
        .size:           4
        .value_kind:     by_value
    .group_segment_fixed_size: 0
    .kernarg_segment_align: 8
    .kernarg_segment_size: 72
    .language:       OpenCL C
    .language_version:
      - 2
      - 0
    .max_flat_workgroup_size: 1024
    .name:           _Z18compute_semblancesPKfS0_S0_PfS1_iiffiiii
    .private_segment_fixed_size: 0
    .sgpr_count:     40
    .sgpr_spill_count: 0
    .symbol:         _Z18compute_semblancesPKfS0_S0_PfS1_iiffiiii.kd
    .uniform_work_group_size: 1
    .uses_dynamic_stack: false
    .vgpr_count:     31
    .vgpr_spill_count: 0
    .wavefront_size: 64
  - .args:
      - .actual_access:  read_only
        .address_space:  global
        .offset:         0
        .size:           8
        .value_kind:     global_buffer
      - .actual_access:  read_only
        .address_space:  global
        .offset:         8
        .size:           8
        .value_kind:     global_buffer
      - .actual_access:  write_only
        .address_space:  global
        .offset:         16
        .size:           8
        .value_kind:     global_buffer
      - .actual_access:  write_only
        .address_space:  global
        .offset:         24
        .size:           8
        .value_kind:     global_buffer
      - .actual_access:  write_only
        .address_space:  global
        .offset:         32
        .size:           8
        .value_kind:     global_buffer
      - .offset:         40
        .size:           4
        .value_kind:     by_value
      - .offset:         44
        .size:           4
        .value_kind:     by_value
      - .offset:         48
        .size:           4
        .value_kind:     by_value
    .group_segment_fixed_size: 0
    .kernarg_segment_align: 8
    .kernarg_segment_size: 52
    .language:       OpenCL C
    .language_version:
      - 2
      - 0
    .max_flat_workgroup_size: 1024
    .name:           _Z16redux_semblancesPKfS0_PiPfS2_iii
    .private_segment_fixed_size: 0
    .sgpr_count:     24
    .sgpr_spill_count: 0
    .symbol:         _Z16redux_semblancesPKfS0_PiPfS2_iii.kd
    .uniform_work_group_size: 1
    .uses_dynamic_stack: false
    .vgpr_count:     12
    .vgpr_spill_count: 0
    .wavefront_size: 64
amdhsa.target:   amdgcn-amd-amdhsa--gfx906
amdhsa.version:
  - 1
  - 2
...

	.end_amdgpu_metadata
